;; amdgpu-corpus repo=zjin-lcf/HeCBench kind=compiled arch=gfx906 opt=O3
	.amdgcn_target "amdgcn-amd-amdhsa--gfx906"
	.amdhsa_code_object_version 6
	.text
	.protected	_Z29tensor_packed_accessor_kernel27GenericPackedTensorAccessorIfLm1E17RestrictPtrTraitslES_IfLm2ES0_lES1_ ; -- Begin function _Z29tensor_packed_accessor_kernel27GenericPackedTensorAccessorIfLm1E17RestrictPtrTraitslES_IfLm2ES0_lES1_
	.globl	_Z29tensor_packed_accessor_kernel27GenericPackedTensorAccessorIfLm1E17RestrictPtrTraitslES_IfLm2ES0_lES1_
	.p2align	8
	.type	_Z29tensor_packed_accessor_kernel27GenericPackedTensorAccessorIfLm1E17RestrictPtrTraitslES_IfLm2ES0_lES1_,@function
_Z29tensor_packed_accessor_kernel27GenericPackedTensorAccessorIfLm1E17RestrictPtrTraitslES_IfLm2ES0_lES1_: ; @_Z29tensor_packed_accessor_kernel27GenericPackedTensorAccessorIfLm1E17RestrictPtrTraitslES_IfLm2ES0_lES1_
; %bb.0:
	s_load_dword s7, s[4:5], 0x64
	s_load_dwordx4 s[0:3], s[4:5], 0x0
	v_mov_b32_e32 v1, 0
	s_waitcnt lgkmcnt(0)
	s_and_b32 s7, s7, 0xffff
	s_mul_i32 s6, s6, s7
	v_add_u32_e32 v0, s6, v0
	v_cmp_gt_i64_e32 vcc, s[2:3], v[0:1]
	s_and_saveexec_b64 s[2:3], vcc
	s_cbranch_execz .LBB0_5
; %bb.1:
	s_load_dwordx2 s[6:7], s[4:5], 0x28
	s_load_dwordx2 s[2:3], s[4:5], 0x10
	s_waitcnt lgkmcnt(0)
	v_cmp_lt_i64_e64 s[8:9], s[6:7], 1
	s_and_b64 vcc, exec, s[8:9]
	s_cbranch_vccnz .LBB0_4
; %bb.2:
	s_load_dwordx4 s[12:15], s[4:5], 0x30
	s_waitcnt lgkmcnt(0)
	v_mad_u64_u32 v[1:2], s[8:9], s12, v0, 0
	s_load_dwordx2 s[16:17], s[4:5], 0x18
	s_load_dwordx2 s[8:9], s[4:5], 0x40
	;; [unrolled: 1-line block ×3, first 2 shown]
	v_mad_u64_u32 v[2:3], s[4:5], s13, v0, v[2:3]
	s_waitcnt lgkmcnt(0)
	v_mov_b32_e32 v4, s17
	s_lshl_b64 s[4:5], s[14:15], 2
	v_lshlrev_b64 v[2:3], 2, v[1:2]
	s_lshl_b64 s[10:11], s[10:11], 2
	v_add_co_u32_e32 v2, vcc, s16, v2
	v_addc_co_u32_e32 v3, vcc, v4, v3, vcc
	v_mov_b32_e32 v1, 0
	v_mov_b32_e32 v4, s5
.LBB0_3:                                ; =>This Inner Loop Header: Depth=1
	global_load_dword v5, v[2:3], off
	s_load_dword s5, s[8:9], 0x0
	s_add_u32 s6, s6, -1
	s_addc_u32 s7, s7, -1
	s_add_u32 s8, s8, s10
	v_add_co_u32_e32 v2, vcc, s4, v2
	s_addc_u32 s9, s9, s11
	v_addc_co_u32_e32 v3, vcc, v3, v4, vcc
	s_cmp_eq_u64 s[6:7], 0
	s_waitcnt vmcnt(0) lgkmcnt(0)
	v_fmac_f32_e32 v1, s5, v5
	s_cbranch_scc0 .LBB0_3
.LBB0_4:
	v_mad_u64_u32 v[2:3], s[4:5], s2, v0, 0
	v_mad_u64_u32 v[3:4], s[2:3], s3, v0, v[3:4]
	v_mov_b32_e32 v0, s1
	v_lshlrev_b64 v[2:3], 2, v[2:3]
	v_add_co_u32_e32 v2, vcc, s0, v2
	v_addc_co_u32_e32 v3, vcc, v0, v3, vcc
	global_store_dword v[2:3], v1, off
.LBB0_5:
	s_endpgm
	.section	.rodata,"a",@progbits
	.p2align	6, 0x0
	.amdhsa_kernel _Z29tensor_packed_accessor_kernel27GenericPackedTensorAccessorIfLm1E17RestrictPtrTraitslES_IfLm2ES0_lES1_
		.amdhsa_group_segment_fixed_size 0
		.amdhsa_private_segment_fixed_size 0
		.amdhsa_kernarg_size 344
		.amdhsa_user_sgpr_count 6
		.amdhsa_user_sgpr_private_segment_buffer 1
		.amdhsa_user_sgpr_dispatch_ptr 0
		.amdhsa_user_sgpr_queue_ptr 0
		.amdhsa_user_sgpr_kernarg_segment_ptr 1
		.amdhsa_user_sgpr_dispatch_id 0
		.amdhsa_user_sgpr_flat_scratch_init 0
		.amdhsa_user_sgpr_private_segment_size 0
		.amdhsa_uses_dynamic_stack 0
		.amdhsa_system_sgpr_private_segment_wavefront_offset 0
		.amdhsa_system_sgpr_workgroup_id_x 1
		.amdhsa_system_sgpr_workgroup_id_y 0
		.amdhsa_system_sgpr_workgroup_id_z 0
		.amdhsa_system_sgpr_workgroup_info 0
		.amdhsa_system_vgpr_workitem_id 0
		.amdhsa_next_free_vgpr 6
		.amdhsa_next_free_sgpr 18
		.amdhsa_reserve_vcc 1
		.amdhsa_reserve_flat_scratch 0
		.amdhsa_float_round_mode_32 0
		.amdhsa_float_round_mode_16_64 0
		.amdhsa_float_denorm_mode_32 3
		.amdhsa_float_denorm_mode_16_64 3
		.amdhsa_dx10_clamp 1
		.amdhsa_ieee_mode 1
		.amdhsa_fp16_overflow 0
		.amdhsa_exception_fp_ieee_invalid_op 0
		.amdhsa_exception_fp_denorm_src 0
		.amdhsa_exception_fp_ieee_div_zero 0
		.amdhsa_exception_fp_ieee_overflow 0
		.amdhsa_exception_fp_ieee_underflow 0
		.amdhsa_exception_fp_ieee_inexact 0
		.amdhsa_exception_int_div_zero 0
	.end_amdhsa_kernel
	.text
.Lfunc_end0:
	.size	_Z29tensor_packed_accessor_kernel27GenericPackedTensorAccessorIfLm1E17RestrictPtrTraitslES_IfLm2ES0_lES1_, .Lfunc_end0-_Z29tensor_packed_accessor_kernel27GenericPackedTensorAccessorIfLm1E17RestrictPtrTraitslES_IfLm2ES0_lES1_
                                        ; -- End function
	.set _Z29tensor_packed_accessor_kernel27GenericPackedTensorAccessorIfLm1E17RestrictPtrTraitslES_IfLm2ES0_lES1_.num_vgpr, 6
	.set _Z29tensor_packed_accessor_kernel27GenericPackedTensorAccessorIfLm1E17RestrictPtrTraitslES_IfLm2ES0_lES1_.num_agpr, 0
	.set _Z29tensor_packed_accessor_kernel27GenericPackedTensorAccessorIfLm1E17RestrictPtrTraitslES_IfLm2ES0_lES1_.numbered_sgpr, 18
	.set _Z29tensor_packed_accessor_kernel27GenericPackedTensorAccessorIfLm1E17RestrictPtrTraitslES_IfLm2ES0_lES1_.num_named_barrier, 0
	.set _Z29tensor_packed_accessor_kernel27GenericPackedTensorAccessorIfLm1E17RestrictPtrTraitslES_IfLm2ES0_lES1_.private_seg_size, 0
	.set _Z29tensor_packed_accessor_kernel27GenericPackedTensorAccessorIfLm1E17RestrictPtrTraitslES_IfLm2ES0_lES1_.uses_vcc, 1
	.set _Z29tensor_packed_accessor_kernel27GenericPackedTensorAccessorIfLm1E17RestrictPtrTraitslES_IfLm2ES0_lES1_.uses_flat_scratch, 0
	.set _Z29tensor_packed_accessor_kernel27GenericPackedTensorAccessorIfLm1E17RestrictPtrTraitslES_IfLm2ES0_lES1_.has_dyn_sized_stack, 0
	.set _Z29tensor_packed_accessor_kernel27GenericPackedTensorAccessorIfLm1E17RestrictPtrTraitslES_IfLm2ES0_lES1_.has_recursion, 0
	.set _Z29tensor_packed_accessor_kernel27GenericPackedTensorAccessorIfLm1E17RestrictPtrTraitslES_IfLm2ES0_lES1_.has_indirect_call, 0
	.section	.AMDGPU.csdata,"",@progbits
; Kernel info:
; codeLenInByte = 284
; TotalNumSgprs: 22
; NumVgprs: 6
; ScratchSize: 0
; MemoryBound: 0
; FloatMode: 240
; IeeeMode: 1
; LDSByteSize: 0 bytes/workgroup (compile time only)
; SGPRBlocks: 2
; VGPRBlocks: 1
; NumSGPRsForWavesPerEU: 22
; NumVGPRsForWavesPerEU: 6
; Occupancy: 10
; WaveLimiterHint : 0
; COMPUTE_PGM_RSRC2:SCRATCH_EN: 0
; COMPUTE_PGM_RSRC2:USER_SGPR: 6
; COMPUTE_PGM_RSRC2:TRAP_HANDLER: 0
; COMPUTE_PGM_RSRC2:TGID_X_EN: 1
; COMPUTE_PGM_RSRC2:TGID_Y_EN: 0
; COMPUTE_PGM_RSRC2:TGID_Z_EN: 0
; COMPUTE_PGM_RSRC2:TIDIG_COMP_CNT: 0
	.text
	.protected	_Z19raw_accessor_kernelllPfPKfS1_ ; -- Begin function _Z19raw_accessor_kernelllPfPKfS1_
	.globl	_Z19raw_accessor_kernelllPfPKfS1_
	.p2align	8
	.type	_Z19raw_accessor_kernelllPfPKfS1_,@function
_Z19raw_accessor_kernelllPfPKfS1_:      ; @_Z19raw_accessor_kernelllPfPKfS1_
; %bb.0:
	s_load_dword s7, s[4:5], 0x34
	s_load_dwordx4 s[0:3], s[4:5], 0x0
	v_mov_b32_e32 v4, 0
	v_mov_b32_e32 v1, v4
	s_waitcnt lgkmcnt(0)
	s_and_b32 s7, s7, 0xffff
	s_mul_i32 s6, s6, s7
	v_add_u32_e32 v0, s6, v0
	v_cmp_gt_i64_e32 vcc, s[0:1], v[0:1]
	s_and_saveexec_b64 s[0:1], vcc
	s_cbranch_execz .LBB1_5
; %bb.1:
	s_load_dwordx2 s[0:1], s[4:5], 0x10
	v_cmp_lt_i64_e64 s[6:7], s[2:3], 1
	s_and_b64 vcc, exec, s[6:7]
	s_cbranch_vccnz .LBB1_4
; %bb.2:
	v_mad_u64_u32 v[2:3], s[6:7], s2, v0, 0
	s_load_dwordx4 s[8:11], s[4:5], 0x18
	v_mad_u64_u32 v[3:4], s[4:5], s3, v0, v[3:4]
	s_waitcnt lgkmcnt(0)
	v_mov_b32_e32 v4, s9
	v_lshlrev_b64 v[2:3], 2, v[2:3]
	v_add_co_u32_e32 v2, vcc, s8, v2
	v_addc_co_u32_e32 v3, vcc, v4, v3, vcc
	v_mov_b32_e32 v4, 0
.LBB1_3:                                ; =>This Inner Loop Header: Depth=1
	global_load_dword v5, v[2:3], off
	s_load_dword s4, s[10:11], 0x0
	s_add_u32 s2, s2, -1
	s_addc_u32 s3, s3, -1
	s_add_u32 s10, s10, 4
	v_add_co_u32_e32 v2, vcc, 4, v2
	s_addc_u32 s11, s11, 0
	v_addc_co_u32_e32 v3, vcc, 0, v3, vcc
	s_cmp_eq_u64 s[2:3], 0
	s_waitcnt vmcnt(0) lgkmcnt(0)
	v_fmac_f32_e32 v4, s4, v5
	s_cbranch_scc0 .LBB1_3
.LBB1_4:
	v_lshlrev_b64 v[0:1], 2, v[0:1]
	s_waitcnt lgkmcnt(0)
	v_mov_b32_e32 v2, s1
	v_add_co_u32_e32 v0, vcc, s0, v0
	v_addc_co_u32_e32 v1, vcc, v2, v1, vcc
	global_store_dword v[0:1], v4, off
.LBB1_5:
	s_endpgm
	.section	.rodata,"a",@progbits
	.p2align	6, 0x0
	.amdhsa_kernel _Z19raw_accessor_kernelllPfPKfS1_
		.amdhsa_group_segment_fixed_size 0
		.amdhsa_private_segment_fixed_size 0
		.amdhsa_kernarg_size 296
		.amdhsa_user_sgpr_count 6
		.amdhsa_user_sgpr_private_segment_buffer 1
		.amdhsa_user_sgpr_dispatch_ptr 0
		.amdhsa_user_sgpr_queue_ptr 0
		.amdhsa_user_sgpr_kernarg_segment_ptr 1
		.amdhsa_user_sgpr_dispatch_id 0
		.amdhsa_user_sgpr_flat_scratch_init 0
		.amdhsa_user_sgpr_private_segment_size 0
		.amdhsa_uses_dynamic_stack 0
		.amdhsa_system_sgpr_private_segment_wavefront_offset 0
		.amdhsa_system_sgpr_workgroup_id_x 1
		.amdhsa_system_sgpr_workgroup_id_y 0
		.amdhsa_system_sgpr_workgroup_id_z 0
		.amdhsa_system_sgpr_workgroup_info 0
		.amdhsa_system_vgpr_workitem_id 0
		.amdhsa_next_free_vgpr 6
		.amdhsa_next_free_sgpr 12
		.amdhsa_reserve_vcc 1
		.amdhsa_reserve_flat_scratch 0
		.amdhsa_float_round_mode_32 0
		.amdhsa_float_round_mode_16_64 0
		.amdhsa_float_denorm_mode_32 3
		.amdhsa_float_denorm_mode_16_64 3
		.amdhsa_dx10_clamp 1
		.amdhsa_ieee_mode 1
		.amdhsa_fp16_overflow 0
		.amdhsa_exception_fp_ieee_invalid_op 0
		.amdhsa_exception_fp_denorm_src 0
		.amdhsa_exception_fp_ieee_div_zero 0
		.amdhsa_exception_fp_ieee_overflow 0
		.amdhsa_exception_fp_ieee_underflow 0
		.amdhsa_exception_fp_ieee_inexact 0
		.amdhsa_exception_int_div_zero 0
	.end_amdhsa_kernel
	.text
.Lfunc_end1:
	.size	_Z19raw_accessor_kernelllPfPKfS1_, .Lfunc_end1-_Z19raw_accessor_kernelllPfPKfS1_
                                        ; -- End function
	.set _Z19raw_accessor_kernelllPfPKfS1_.num_vgpr, 6
	.set _Z19raw_accessor_kernelllPfPKfS1_.num_agpr, 0
	.set _Z19raw_accessor_kernelllPfPKfS1_.numbered_sgpr, 12
	.set _Z19raw_accessor_kernelllPfPKfS1_.num_named_barrier, 0
	.set _Z19raw_accessor_kernelllPfPKfS1_.private_seg_size, 0
	.set _Z19raw_accessor_kernelllPfPKfS1_.uses_vcc, 1
	.set _Z19raw_accessor_kernelllPfPKfS1_.uses_flat_scratch, 0
	.set _Z19raw_accessor_kernelllPfPKfS1_.has_dyn_sized_stack, 0
	.set _Z19raw_accessor_kernelllPfPKfS1_.has_recursion, 0
	.set _Z19raw_accessor_kernelllPfPKfS1_.has_indirect_call, 0
	.section	.AMDGPU.csdata,"",@progbits
; Kernel info:
; codeLenInByte = 224
; TotalNumSgprs: 16
; NumVgprs: 6
; ScratchSize: 0
; MemoryBound: 0
; FloatMode: 240
; IeeeMode: 1
; LDSByteSize: 0 bytes/workgroup (compile time only)
; SGPRBlocks: 1
; VGPRBlocks: 1
; NumSGPRsForWavesPerEU: 16
; NumVGPRsForWavesPerEU: 6
; Occupancy: 10
; WaveLimiterHint : 0
; COMPUTE_PGM_RSRC2:SCRATCH_EN: 0
; COMPUTE_PGM_RSRC2:USER_SGPR: 6
; COMPUTE_PGM_RSRC2:TRAP_HANDLER: 0
; COMPUTE_PGM_RSRC2:TGID_X_EN: 1
; COMPUTE_PGM_RSRC2:TGID_Y_EN: 0
; COMPUTE_PGM_RSRC2:TGID_Z_EN: 0
; COMPUTE_PGM_RSRC2:TIDIG_COMP_CNT: 0
	.section	.AMDGPU.gpr_maximums,"",@progbits
	.set amdgpu.max_num_vgpr, 0
	.set amdgpu.max_num_agpr, 0
	.set amdgpu.max_num_sgpr, 0
	.section	.AMDGPU.csdata,"",@progbits
	.type	__hip_cuid_373c788f87f5f634,@object ; @__hip_cuid_373c788f87f5f634
	.section	.bss,"aw",@nobits
	.globl	__hip_cuid_373c788f87f5f634
__hip_cuid_373c788f87f5f634:
	.byte	0                               ; 0x0
	.size	__hip_cuid_373c788f87f5f634, 1

	.ident	"AMD clang version 22.0.0git (https://github.com/RadeonOpenCompute/llvm-project roc-7.2.4 26084 f58b06dce1f9c15707c5f808fd002e18c2accf7e)"
	.section	".note.GNU-stack","",@progbits
	.addrsig
	.addrsig_sym __hip_cuid_373c788f87f5f634
	.amdgpu_metadata
---
amdhsa.kernels:
  - .args:
      - .offset:         0
        .size:           24
        .value_kind:     by_value
      - .offset:         24
        .size:           40
        .value_kind:     by_value
      - .offset:         64
        .size:           24
        .value_kind:     by_value
      - .offset:         88
        .size:           4
        .value_kind:     hidden_block_count_x
      - .offset:         92
        .size:           4
        .value_kind:     hidden_block_count_y
      - .offset:         96
        .size:           4
        .value_kind:     hidden_block_count_z
      - .offset:         100
        .size:           2
        .value_kind:     hidden_group_size_x
      - .offset:         102
        .size:           2
        .value_kind:     hidden_group_size_y
      - .offset:         104
        .size:           2
        .value_kind:     hidden_group_size_z
      - .offset:         106
        .size:           2
        .value_kind:     hidden_remainder_x
      - .offset:         108
        .size:           2
        .value_kind:     hidden_remainder_y
      - .offset:         110
        .size:           2
        .value_kind:     hidden_remainder_z
      - .offset:         128
        .size:           8
        .value_kind:     hidden_global_offset_x
      - .offset:         136
        .size:           8
        .value_kind:     hidden_global_offset_y
      - .offset:         144
        .size:           8
        .value_kind:     hidden_global_offset_z
      - .offset:         152
        .size:           2
        .value_kind:     hidden_grid_dims
    .group_segment_fixed_size: 0
    .kernarg_segment_align: 8
    .kernarg_segment_size: 344
    .language:       OpenCL C
    .language_version:
      - 2
      - 0
    .max_flat_workgroup_size: 1024
    .name:           _Z29tensor_packed_accessor_kernel27GenericPackedTensorAccessorIfLm1E17RestrictPtrTraitslES_IfLm2ES0_lES1_
    .private_segment_fixed_size: 0
    .sgpr_count:     22
    .sgpr_spill_count: 0
    .symbol:         _Z29tensor_packed_accessor_kernel27GenericPackedTensorAccessorIfLm1E17RestrictPtrTraitslES_IfLm2ES0_lES1_.kd
    .uniform_work_group_size: 1
    .uses_dynamic_stack: false
    .vgpr_count:     6
    .vgpr_spill_count: 0
    .wavefront_size: 64
  - .args:
      - .offset:         0
        .size:           8
        .value_kind:     by_value
      - .offset:         8
        .size:           8
        .value_kind:     by_value
      - .actual_access:  write_only
        .address_space:  global
        .offset:         16
        .size:           8
        .value_kind:     global_buffer
      - .actual_access:  read_only
        .address_space:  global
        .offset:         24
        .size:           8
        .value_kind:     global_buffer
      - .actual_access:  read_only
        .address_space:  global
        .offset:         32
        .size:           8
        .value_kind:     global_buffer
      - .offset:         40
        .size:           4
        .value_kind:     hidden_block_count_x
      - .offset:         44
        .size:           4
        .value_kind:     hidden_block_count_y
      - .offset:         48
        .size:           4
        .value_kind:     hidden_block_count_z
      - .offset:         52
        .size:           2
        .value_kind:     hidden_group_size_x
      - .offset:         54
        .size:           2
        .value_kind:     hidden_group_size_y
      - .offset:         56
        .size:           2
        .value_kind:     hidden_group_size_z
      - .offset:         58
        .size:           2
        .value_kind:     hidden_remainder_x
      - .offset:         60
        .size:           2
        .value_kind:     hidden_remainder_y
      - .offset:         62
        .size:           2
        .value_kind:     hidden_remainder_z
      - .offset:         80
        .size:           8
        .value_kind:     hidden_global_offset_x
      - .offset:         88
        .size:           8
        .value_kind:     hidden_global_offset_y
      - .offset:         96
        .size:           8
        .value_kind:     hidden_global_offset_z
      - .offset:         104
        .size:           2
        .value_kind:     hidden_grid_dims
    .group_segment_fixed_size: 0
    .kernarg_segment_align: 8
    .kernarg_segment_size: 296
    .language:       OpenCL C
    .language_version:
      - 2
      - 0
    .max_flat_workgroup_size: 1024
    .name:           _Z19raw_accessor_kernelllPfPKfS1_
    .private_segment_fixed_size: 0
    .sgpr_count:     16
    .sgpr_spill_count: 0
    .symbol:         _Z19raw_accessor_kernelllPfPKfS1_.kd
    .uniform_work_group_size: 1
    .uses_dynamic_stack: false
    .vgpr_count:     6
    .vgpr_spill_count: 0
    .wavefront_size: 64
amdhsa.target:   amdgcn-amd-amdhsa--gfx906
amdhsa.version:
  - 1
  - 2
...

	.end_amdgpu_metadata
